;; amdgpu-corpus repo=ROCm/rocFFT kind=compiled arch=gfx1201 opt=O3
	.text
	.amdgcn_target "amdgcn-amd-amdhsa--gfx1201"
	.amdhsa_code_object_version 6
	.protected	fft_rtc_fwd_len1134_factors_2_3_3_3_3_7_wgs_126_tpt_126_dp_op_CI_CI_unitstride_sbrr_R2C_dirReg ; -- Begin function fft_rtc_fwd_len1134_factors_2_3_3_3_3_7_wgs_126_tpt_126_dp_op_CI_CI_unitstride_sbrr_R2C_dirReg
	.globl	fft_rtc_fwd_len1134_factors_2_3_3_3_3_7_wgs_126_tpt_126_dp_op_CI_CI_unitstride_sbrr_R2C_dirReg
	.p2align	8
	.type	fft_rtc_fwd_len1134_factors_2_3_3_3_3_7_wgs_126_tpt_126_dp_op_CI_CI_unitstride_sbrr_R2C_dirReg,@function
fft_rtc_fwd_len1134_factors_2_3_3_3_3_7_wgs_126_tpt_126_dp_op_CI_CI_unitstride_sbrr_R2C_dirReg: ; @fft_rtc_fwd_len1134_factors_2_3_3_3_3_7_wgs_126_tpt_126_dp_op_CI_CI_unitstride_sbrr_R2C_dirReg
; %bb.0:
	s_clause 0x2
	s_load_b128 s[8:11], s[0:1], 0x0
	s_load_b128 s[4:7], s[0:1], 0x58
	;; [unrolled: 1-line block ×3, first 2 shown]
	v_mul_u32_u24_e32 v1, 0x209, v0
	v_mov_b32_e32 v3, 0
	s_delay_alu instid0(VALU_DEP_2) | instskip(NEXT) | instid1(VALU_DEP_1)
	v_lshrrev_b32_e32 v1, 16, v1
	v_add_nc_u32_e32 v5, ttmp9, v1
	v_mov_b32_e32 v1, 0
	v_mov_b32_e32 v2, 0
	;; [unrolled: 1-line block ×3, first 2 shown]
	s_wait_kmcnt 0x0
	v_cmp_lt_u64_e64 s2, s[10:11], 2
	s_delay_alu instid0(VALU_DEP_1)
	s_and_b32 vcc_lo, exec_lo, s2
	s_cbranch_vccnz .LBB0_8
; %bb.1:
	s_load_b64 s[2:3], s[0:1], 0x10
	v_mov_b32_e32 v1, 0
	v_mov_b32_e32 v2, 0
	s_add_nc_u64 s[16:17], s[14:15], 8
	s_add_nc_u64 s[18:19], s[12:13], 8
	s_mov_b64 s[20:21], 1
	s_delay_alu instid0(VALU_DEP_1)
	v_dual_mov_b32 v57, v2 :: v_dual_mov_b32 v56, v1
	s_wait_kmcnt 0x0
	s_add_nc_u64 s[22:23], s[2:3], 8
	s_mov_b32 s3, 0
.LBB0_2:                                ; =>This Inner Loop Header: Depth=1
	s_load_b64 s[24:25], s[22:23], 0x0
                                        ; implicit-def: $vgpr60_vgpr61
	s_mov_b32 s2, exec_lo
	s_wait_kmcnt 0x0
	v_or_b32_e32 v4, s25, v6
	s_delay_alu instid0(VALU_DEP_1)
	v_cmpx_ne_u64_e32 0, v[3:4]
	s_wait_alu 0xfffe
	s_xor_b32 s26, exec_lo, s2
	s_cbranch_execz .LBB0_4
; %bb.3:                                ;   in Loop: Header=BB0_2 Depth=1
	s_cvt_f32_u32 s2, s24
	s_cvt_f32_u32 s27, s25
	s_sub_nc_u64 s[30:31], 0, s[24:25]
	s_wait_alu 0xfffe
	s_delay_alu instid0(SALU_CYCLE_1) | instskip(SKIP_1) | instid1(SALU_CYCLE_2)
	s_fmamk_f32 s2, s27, 0x4f800000, s2
	s_wait_alu 0xfffe
	v_s_rcp_f32 s2, s2
	s_delay_alu instid0(TRANS32_DEP_1) | instskip(SKIP_1) | instid1(SALU_CYCLE_2)
	s_mul_f32 s2, s2, 0x5f7ffffc
	s_wait_alu 0xfffe
	s_mul_f32 s27, s2, 0x2f800000
	s_wait_alu 0xfffe
	s_delay_alu instid0(SALU_CYCLE_2) | instskip(SKIP_1) | instid1(SALU_CYCLE_2)
	s_trunc_f32 s27, s27
	s_wait_alu 0xfffe
	s_fmamk_f32 s2, s27, 0xcf800000, s2
	s_cvt_u32_f32 s29, s27
	s_wait_alu 0xfffe
	s_delay_alu instid0(SALU_CYCLE_1) | instskip(SKIP_1) | instid1(SALU_CYCLE_2)
	s_cvt_u32_f32 s28, s2
	s_wait_alu 0xfffe
	s_mul_u64 s[34:35], s[30:31], s[28:29]
	s_wait_alu 0xfffe
	s_mul_hi_u32 s37, s28, s35
	s_mul_i32 s36, s28, s35
	s_mul_hi_u32 s2, s28, s34
	s_mul_i32 s33, s29, s34
	s_wait_alu 0xfffe
	s_add_nc_u64 s[36:37], s[2:3], s[36:37]
	s_mul_hi_u32 s27, s29, s34
	s_mul_hi_u32 s38, s29, s35
	s_add_co_u32 s2, s36, s33
	s_wait_alu 0xfffe
	s_add_co_ci_u32 s2, s37, s27
	s_mul_i32 s34, s29, s35
	s_add_co_ci_u32 s35, s38, 0
	s_wait_alu 0xfffe
	s_add_nc_u64 s[34:35], s[2:3], s[34:35]
	s_wait_alu 0xfffe
	v_add_co_u32 v4, s2, s28, s34
	s_delay_alu instid0(VALU_DEP_1) | instskip(SKIP_1) | instid1(VALU_DEP_1)
	s_cmp_lg_u32 s2, 0
	s_add_co_ci_u32 s29, s29, s35
	v_readfirstlane_b32 s28, v4
	s_wait_alu 0xfffe
	s_delay_alu instid0(VALU_DEP_1)
	s_mul_u64 s[30:31], s[30:31], s[28:29]
	s_wait_alu 0xfffe
	s_mul_hi_u32 s35, s28, s31
	s_mul_i32 s34, s28, s31
	s_mul_hi_u32 s2, s28, s30
	s_mul_i32 s33, s29, s30
	s_wait_alu 0xfffe
	s_add_nc_u64 s[34:35], s[2:3], s[34:35]
	s_mul_hi_u32 s27, s29, s30
	s_mul_hi_u32 s28, s29, s31
	s_wait_alu 0xfffe
	s_add_co_u32 s2, s34, s33
	s_add_co_ci_u32 s2, s35, s27
	s_mul_i32 s30, s29, s31
	s_add_co_ci_u32 s31, s28, 0
	s_wait_alu 0xfffe
	s_add_nc_u64 s[30:31], s[2:3], s[30:31]
	s_wait_alu 0xfffe
	v_add_co_u32 v4, s2, v4, s30
	s_delay_alu instid0(VALU_DEP_1) | instskip(SKIP_1) | instid1(VALU_DEP_1)
	s_cmp_lg_u32 s2, 0
	s_add_co_ci_u32 s2, s29, s31
	v_mul_hi_u32 v13, v5, v4
	s_wait_alu 0xfffe
	v_mad_co_u64_u32 v[7:8], null, v5, s2, 0
	v_mad_co_u64_u32 v[9:10], null, v6, v4, 0
	;; [unrolled: 1-line block ×3, first 2 shown]
	s_delay_alu instid0(VALU_DEP_3) | instskip(SKIP_1) | instid1(VALU_DEP_4)
	v_add_co_u32 v4, vcc_lo, v13, v7
	s_wait_alu 0xfffd
	v_add_co_ci_u32_e32 v7, vcc_lo, 0, v8, vcc_lo
	s_delay_alu instid0(VALU_DEP_2) | instskip(SKIP_1) | instid1(VALU_DEP_2)
	v_add_co_u32 v4, vcc_lo, v4, v9
	s_wait_alu 0xfffd
	v_add_co_ci_u32_e32 v4, vcc_lo, v7, v10, vcc_lo
	s_wait_alu 0xfffd
	v_add_co_ci_u32_e32 v7, vcc_lo, 0, v12, vcc_lo
	s_delay_alu instid0(VALU_DEP_2) | instskip(SKIP_1) | instid1(VALU_DEP_2)
	v_add_co_u32 v4, vcc_lo, v4, v11
	s_wait_alu 0xfffd
	v_add_co_ci_u32_e32 v9, vcc_lo, 0, v7, vcc_lo
	s_delay_alu instid0(VALU_DEP_2) | instskip(SKIP_1) | instid1(VALU_DEP_3)
	v_mul_lo_u32 v10, s25, v4
	v_mad_co_u64_u32 v[7:8], null, s24, v4, 0
	v_mul_lo_u32 v11, s24, v9
	s_delay_alu instid0(VALU_DEP_2) | instskip(NEXT) | instid1(VALU_DEP_2)
	v_sub_co_u32 v7, vcc_lo, v5, v7
	v_add3_u32 v8, v8, v11, v10
	s_delay_alu instid0(VALU_DEP_1) | instskip(SKIP_1) | instid1(VALU_DEP_1)
	v_sub_nc_u32_e32 v10, v6, v8
	s_wait_alu 0xfffd
	v_subrev_co_ci_u32_e64 v10, s2, s25, v10, vcc_lo
	v_add_co_u32 v11, s2, v4, 2
	s_wait_alu 0xf1ff
	v_add_co_ci_u32_e64 v12, s2, 0, v9, s2
	v_sub_co_u32 v13, s2, v7, s24
	v_sub_co_ci_u32_e32 v8, vcc_lo, v6, v8, vcc_lo
	s_wait_alu 0xf1ff
	v_subrev_co_ci_u32_e64 v10, s2, 0, v10, s2
	s_delay_alu instid0(VALU_DEP_3) | instskip(NEXT) | instid1(VALU_DEP_3)
	v_cmp_le_u32_e32 vcc_lo, s24, v13
	v_cmp_eq_u32_e64 s2, s25, v8
	s_wait_alu 0xfffd
	v_cndmask_b32_e64 v13, 0, -1, vcc_lo
	v_cmp_le_u32_e32 vcc_lo, s25, v10
	s_wait_alu 0xfffd
	v_cndmask_b32_e64 v14, 0, -1, vcc_lo
	v_cmp_le_u32_e32 vcc_lo, s24, v7
	;; [unrolled: 3-line block ×3, first 2 shown]
	s_wait_alu 0xfffd
	v_cndmask_b32_e64 v15, 0, -1, vcc_lo
	v_cmp_eq_u32_e32 vcc_lo, s25, v10
	s_wait_alu 0xf1ff
	s_delay_alu instid0(VALU_DEP_2)
	v_cndmask_b32_e64 v7, v15, v7, s2
	s_wait_alu 0xfffd
	v_cndmask_b32_e32 v10, v14, v13, vcc_lo
	v_add_co_u32 v13, vcc_lo, v4, 1
	s_wait_alu 0xfffd
	v_add_co_ci_u32_e32 v14, vcc_lo, 0, v9, vcc_lo
	s_delay_alu instid0(VALU_DEP_3) | instskip(SKIP_1) | instid1(VALU_DEP_2)
	v_cmp_ne_u32_e32 vcc_lo, 0, v10
	s_wait_alu 0xfffd
	v_cndmask_b32_e32 v8, v14, v12, vcc_lo
	v_cndmask_b32_e32 v10, v13, v11, vcc_lo
	v_cmp_ne_u32_e32 vcc_lo, 0, v7
	s_wait_alu 0xfffd
	s_delay_alu instid0(VALU_DEP_2)
	v_dual_cndmask_b32 v61, v9, v8 :: v_dual_cndmask_b32 v60, v4, v10
.LBB0_4:                                ;   in Loop: Header=BB0_2 Depth=1
	s_wait_alu 0xfffe
	s_and_not1_saveexec_b32 s2, s26
	s_cbranch_execz .LBB0_6
; %bb.5:                                ;   in Loop: Header=BB0_2 Depth=1
	v_cvt_f32_u32_e32 v4, s24
	s_sub_co_i32 s26, 0, s24
	v_mov_b32_e32 v61, v3
	s_delay_alu instid0(VALU_DEP_2) | instskip(NEXT) | instid1(TRANS32_DEP_1)
	v_rcp_iflag_f32_e32 v4, v4
	v_mul_f32_e32 v4, 0x4f7ffffe, v4
	s_delay_alu instid0(VALU_DEP_1) | instskip(SKIP_1) | instid1(VALU_DEP_1)
	v_cvt_u32_f32_e32 v4, v4
	s_wait_alu 0xfffe
	v_mul_lo_u32 v7, s26, v4
	s_delay_alu instid0(VALU_DEP_1) | instskip(NEXT) | instid1(VALU_DEP_1)
	v_mul_hi_u32 v7, v4, v7
	v_add_nc_u32_e32 v4, v4, v7
	s_delay_alu instid0(VALU_DEP_1) | instskip(NEXT) | instid1(VALU_DEP_1)
	v_mul_hi_u32 v4, v5, v4
	v_mul_lo_u32 v7, v4, s24
	v_add_nc_u32_e32 v8, 1, v4
	s_delay_alu instid0(VALU_DEP_2) | instskip(NEXT) | instid1(VALU_DEP_1)
	v_sub_nc_u32_e32 v7, v5, v7
	v_subrev_nc_u32_e32 v9, s24, v7
	v_cmp_le_u32_e32 vcc_lo, s24, v7
	s_wait_alu 0xfffd
	s_delay_alu instid0(VALU_DEP_2) | instskip(NEXT) | instid1(VALU_DEP_1)
	v_dual_cndmask_b32 v7, v7, v9 :: v_dual_cndmask_b32 v4, v4, v8
	v_cmp_le_u32_e32 vcc_lo, s24, v7
	s_delay_alu instid0(VALU_DEP_2) | instskip(SKIP_1) | instid1(VALU_DEP_1)
	v_add_nc_u32_e32 v8, 1, v4
	s_wait_alu 0xfffd
	v_cndmask_b32_e32 v60, v4, v8, vcc_lo
.LBB0_6:                                ;   in Loop: Header=BB0_2 Depth=1
	s_wait_alu 0xfffe
	s_or_b32 exec_lo, exec_lo, s2
	v_mul_lo_u32 v4, v61, s24
	s_delay_alu instid0(VALU_DEP_2)
	v_mul_lo_u32 v9, v60, s25
	s_load_b64 s[26:27], s[18:19], 0x0
	v_mad_co_u64_u32 v[7:8], null, v60, s24, 0
	s_load_b64 s[24:25], s[16:17], 0x0
	s_add_nc_u64 s[20:21], s[20:21], 1
	s_add_nc_u64 s[16:17], s[16:17], 8
	s_wait_alu 0xfffe
	v_cmp_ge_u64_e64 s2, s[20:21], s[10:11]
	s_add_nc_u64 s[18:19], s[18:19], 8
	s_add_nc_u64 s[22:23], s[22:23], 8
	v_add3_u32 v4, v8, v9, v4
	v_sub_co_u32 v5, vcc_lo, v5, v7
	s_wait_alu 0xfffd
	s_delay_alu instid0(VALU_DEP_2) | instskip(SKIP_2) | instid1(VALU_DEP_1)
	v_sub_co_ci_u32_e32 v4, vcc_lo, v6, v4, vcc_lo
	s_and_b32 vcc_lo, exec_lo, s2
	s_wait_kmcnt 0x0
	v_mul_lo_u32 v6, s26, v4
	v_mul_lo_u32 v7, s27, v5
	v_mad_co_u64_u32 v[1:2], null, s26, v5, v[1:2]
	v_mul_lo_u32 v4, s24, v4
	v_mul_lo_u32 v8, s25, v5
	v_mad_co_u64_u32 v[56:57], null, s24, v5, v[56:57]
	s_delay_alu instid0(VALU_DEP_4) | instskip(NEXT) | instid1(VALU_DEP_2)
	v_add3_u32 v2, v7, v2, v6
	v_add3_u32 v57, v8, v57, v4
	s_wait_alu 0xfffe
	s_cbranch_vccnz .LBB0_9
; %bb.7:                                ;   in Loop: Header=BB0_2 Depth=1
	v_dual_mov_b32 v5, v60 :: v_dual_mov_b32 v6, v61
	s_branch .LBB0_2
.LBB0_8:
	v_dual_mov_b32 v57, v2 :: v_dual_mov_b32 v56, v1
	v_dual_mov_b32 v61, v6 :: v_dual_mov_b32 v60, v5
.LBB0_9:
	s_load_b64 s[0:1], s[0:1], 0x28
	v_mul_hi_u32 v3, 0x2082083, v0
	s_lshl_b64 s[10:11], s[10:11], 3
                                        ; implicit-def: $vgpr58
                                        ; implicit-def: $vgpr62
                                        ; implicit-def: $vgpr65
                                        ; implicit-def: $vgpr64
	s_wait_kmcnt 0x0
	v_cmp_gt_u64_e32 vcc_lo, s[0:1], v[60:61]
	v_cmp_le_u64_e64 s0, s[0:1], v[60:61]
	s_delay_alu instid0(VALU_DEP_1)
	s_and_saveexec_b32 s1, s0
	s_wait_alu 0xfffe
	s_xor_b32 s0, exec_lo, s1
; %bb.10:
	v_mul_u32_u24_e32 v1, 0x7e, v3
                                        ; implicit-def: $vgpr3
	s_delay_alu instid0(VALU_DEP_1) | instskip(NEXT) | instid1(VALU_DEP_1)
	v_sub_nc_u32_e32 v58, v0, v1
                                        ; implicit-def: $vgpr0
                                        ; implicit-def: $vgpr1_vgpr2
	v_add_nc_u32_e32 v62, 0x7e, v58
	v_add_nc_u32_e32 v65, 0xfc, v58
	;; [unrolled: 1-line block ×3, first 2 shown]
; %bb.11:
	s_wait_alu 0xfffe
	s_or_saveexec_b32 s1, s0
	s_add_nc_u64 s[2:3], s[14:15], s[10:11]
	s_wait_alu 0xfffe
	s_xor_b32 exec_lo, exec_lo, s1
	s_cbranch_execz .LBB0_13
; %bb.12:
	s_add_nc_u64 s[10:11], s[12:13], s[10:11]
	v_lshlrev_b64_e32 v[1:2], 4, v[1:2]
	s_load_b64 s[10:11], s[10:11], 0x0
	s_wait_kmcnt 0x0
	v_mul_lo_u32 v6, s11, v60
	v_mul_lo_u32 v7, s10, v61
	v_mad_co_u64_u32 v[4:5], null, s10, v60, 0
	s_delay_alu instid0(VALU_DEP_1) | instskip(SKIP_1) | instid1(VALU_DEP_2)
	v_add3_u32 v5, v5, v7, v6
	v_mul_u32_u24_e32 v6, 0x7e, v3
	v_lshlrev_b64_e32 v[3:4], 4, v[4:5]
	s_delay_alu instid0(VALU_DEP_2) | instskip(NEXT) | instid1(VALU_DEP_1)
	v_sub_nc_u32_e32 v58, v0, v6
	v_lshlrev_b32_e32 v36, 4, v58
	s_delay_alu instid0(VALU_DEP_3) | instskip(SKIP_1) | instid1(VALU_DEP_4)
	v_add_co_u32 v0, s0, s4, v3
	s_wait_alu 0xf1ff
	v_add_co_ci_u32_e64 v3, s0, s5, v4, s0
	v_add_nc_u32_e32 v62, 0x7e, v58
	s_delay_alu instid0(VALU_DEP_3) | instskip(SKIP_1) | instid1(VALU_DEP_3)
	v_add_co_u32 v0, s0, v0, v1
	s_wait_alu 0xf1ff
	v_add_co_ci_u32_e64 v1, s0, v3, v2, s0
	v_add_nc_u32_e32 v65, 0xfc, v58
	s_delay_alu instid0(VALU_DEP_3) | instskip(SKIP_1) | instid1(VALU_DEP_3)
	v_add_co_u32 v32, s0, v0, v36
	s_wait_alu 0xf1ff
	v_add_co_ci_u32_e64 v33, s0, 0, v1, s0
	s_clause 0x8
	global_load_b128 v[0:3], v[32:33], off
	global_load_b128 v[4:7], v[32:33], off offset:2016
	global_load_b128 v[8:11], v[32:33], off offset:4032
	;; [unrolled: 1-line block ×8, first 2 shown]
	v_add_nc_u32_e32 v36, 0, v36
	v_add_nc_u32_e32 v64, 0x17a, v58
	s_wait_loadcnt 0x8
	ds_store_b128 v36, v[0:3]
	s_wait_loadcnt 0x7
	ds_store_b128 v36, v[4:7] offset:2016
	s_wait_loadcnt 0x6
	ds_store_b128 v36, v[8:11] offset:4032
	;; [unrolled: 2-line block ×8, first 2 shown]
.LBB0_13:
	s_or_b32 exec_lo, exec_lo, s1
	v_lshlrev_b32_e32 v59, 4, v58
	s_load_b64 s[2:3], s[2:3], 0x0
	global_wb scope:SCOPE_SE
	s_wait_dscnt 0x0
	s_wait_kmcnt 0x0
	s_barrier_signal -1
	s_barrier_wait -1
	v_add_nc_u32_e32 v67, 0, v59
	global_inv scope:SCOPE_SE
	v_lshl_add_u32 v69, v65, 5, 0
	v_lshl_add_u32 v68, v64, 5, 0
	v_cmp_gt_u32_e64 s0, 63, v58
	ds_load_b128 v[0:3], v67 offset:9072
	ds_load_b128 v[8:11], v67
	ds_load_b128 v[12:15], v67 offset:2016
	ds_load_b128 v[16:19], v67 offset:11088
	;; [unrolled: 1-line block ×8, first 2 shown]
	global_wb scope:SCOPE_SE
	s_wait_dscnt 0x0
	s_barrier_signal -1
	s_barrier_wait -1
	global_inv scope:SCOPE_SE
	v_add_f64_e64 v[40:41], v[8:9], -v[0:1]
	v_add_f64_e64 v[42:43], v[10:11], -v[2:3]
	;; [unrolled: 1-line block ×10, first 2 shown]
	v_fma_f64 v[44:45], v[8:9], 2.0, -v[40:41]
	v_fma_f64 v[46:47], v[10:11], 2.0, -v[42:43]
	;; [unrolled: 1-line block ×8, first 2 shown]
	v_lshl_add_u32 v12, v62, 5, 0
	v_add_nc_u32_e32 v8, v67, v59
	ds_store_b128 v8, v[44:47]
	ds_store_b128 v8, v[40:43] offset:16
	ds_store_b128 v12, v[48:51]
	ds_store_b128 v12, v[16:19] offset:16
	;; [unrolled: 2-line block ×4, first 2 shown]
	s_and_saveexec_b32 s1, s0
	s_cbranch_execz .LBB0_15
; %bb.14:
	v_fma_f64 v[6:7], v[6:7], 2.0, -v[2:3]
	v_fma_f64 v[4:5], v[4:5], 2.0, -v[0:1]
	ds_store_b128 v8, v[4:7] offset:16128
	ds_store_b128 v8, v[0:3] offset:16144
.LBB0_15:
	s_wait_alu 0xfffe
	s_or_b32 exec_lo, exec_lo, s1
	v_and_b32_e32 v9, 1, v58
	global_wb scope:SCOPE_SE
	s_wait_dscnt 0x0
	s_barrier_signal -1
	s_barrier_wait -1
	global_inv scope:SCOPE_SE
	v_lshlrev_b32_e32 v4, 5, v9
	v_lshlrev_b32_e32 v63, 4, v64
	;; [unrolled: 1-line block ×4, first 2 shown]
	s_mov_b32 s4, 0xe8584caa
	s_clause 0x1
	global_load_b128 v[14:17], v4, s[8:9]
	global_load_b128 v[18:21], v4, s[8:9] offset:16
	v_sub_nc_u32_e32 v5, v68, v63
	ds_load_b128 v[22:25], v5
	ds_load_b128 v[26:29], v67 offset:12096
	ds_load_b128 v[30:33], v67 offset:8064
	ds_load_b128 v[34:37], v67 offset:14112
	ds_load_b128 v[38:41], v67 offset:10080
	ds_load_b128 v[42:45], v67 offset:16128
	v_sub_nc_u32_e32 v4, v12, v13
	ds_load_b128 v[46:49], v67
	ds_load_b128 v[50:53], v4
	s_mov_b32 s5, 0x3febb67a
	s_mov_b32 s11, 0xbfebb67a
	s_wait_alu 0xfffe
	s_mov_b32 s10, s4
	v_lshrrev_b32_e32 v92, 1, v62
	v_lshrrev_b32_e32 v93, 1, v65
	v_sub_nc_u32_e32 v13, 0, v13
	v_cmp_gt_u32_e64 s1, 36, v58
	s_wait_loadcnt_dscnt 0x107
	v_mul_f64_e32 v[6:7], v[24:25], v[16:17]
	s_wait_loadcnt_dscnt 0x6
	v_mul_f64_e32 v[10:11], v[28:29], v[20:21]
	v_mul_f64_e32 v[54:55], v[22:23], v[16:17]
	;; [unrolled: 1-line block ×3, first 2 shown]
	s_wait_dscnt 0x5
	v_mul_f64_e32 v[72:73], v[32:33], v[16:17]
	s_wait_dscnt 0x4
	v_mul_f64_e32 v[74:75], v[36:37], v[20:21]
	v_mul_f64_e32 v[76:77], v[30:31], v[16:17]
	;; [unrolled: 1-line block ×3, first 2 shown]
	s_wait_dscnt 0x3
	v_mul_f64_e32 v[80:81], v[40:41], v[16:17]
	s_wait_dscnt 0x2
	v_mul_f64_e32 v[82:83], v[44:45], v[20:21]
	v_mul_f64_e32 v[16:17], v[38:39], v[16:17]
	;; [unrolled: 1-line block ×3, first 2 shown]
	v_fma_f64 v[7:8], v[22:23], v[14:15], -v[6:7]
	v_fma_f64 v[22:23], v[26:27], v[18:19], -v[10:11]
	v_fma_f64 v[10:11], v[24:25], v[14:15], v[54:55]
	v_fma_f64 v[24:25], v[28:29], v[18:19], v[70:71]
	v_fma_f64 v[26:27], v[30:31], v[14:15], -v[72:73]
	v_fma_f64 v[28:29], v[34:35], v[18:19], -v[74:75]
	v_fma_f64 v[30:31], v[32:33], v[14:15], v[76:77]
	v_fma_f64 v[32:33], v[36:37], v[18:19], v[78:79]
	;; [unrolled: 4-line block ×3, first 2 shown]
	v_sub_nc_u32_e32 v6, v69, v66
	ds_load_b128 v[14:17], v6
	global_wb scope:SCOPE_SE
	s_wait_dscnt 0x0
	s_barrier_signal -1
	s_barrier_wait -1
	global_inv scope:SCOPE_SE
	v_add_f64_e32 v[72:73], v[46:47], v[7:8]
	v_add_f64_e32 v[18:19], v[7:8], v[22:23]
	v_add_f64_e32 v[76:77], v[48:49], v[10:11]
	v_add_f64_e32 v[20:21], v[10:11], v[24:25]
	v_add_f64_e64 v[74:75], v[10:11], -v[24:25]
	v_add_f64_e32 v[42:43], v[26:27], v[28:29]
	v_add_f64_e32 v[78:79], v[50:51], v[26:27]
	;; [unrolled: 1-line block ×3, first 2 shown]
	v_add_f64_e64 v[86:87], v[7:8], -v[22:23]
	v_add_f64_e32 v[54:55], v[34:35], v[36:37]
	v_add_f64_e32 v[80:81], v[52:53], v[30:31]
	;; [unrolled: 1-line block ×4, first 2 shown]
	v_add_f64_e64 v[88:89], v[30:31], -v[32:33]
	v_add_f64_e32 v[84:85], v[16:17], v[38:39]
	v_add_f64_e64 v[90:91], v[34:35], -v[36:37]
	v_and_b32_e32 v7, 0xff, v58
	v_and_b32_e32 v8, 0xff, v62
	;; [unrolled: 1-line block ×3, first 2 shown]
	v_lshrrev_b32_e32 v11, 1, v58
	s_delay_alu instid0(VALU_DEP_4) | instskip(NEXT) | instid1(VALU_DEP_2)
	v_mul_lo_u16 v94, 0xab, v7
	v_mul_u32_u24_e32 v11, 6, v11
	s_delay_alu instid0(VALU_DEP_2) | instskip(NEXT) | instid1(VALU_DEP_2)
	v_lshrrev_b16 v96, 10, v94
	v_or_b32_e32 v11, v11, v9
	s_delay_alu instid0(VALU_DEP_1)
	v_lshl_add_u32 v11, v11, 4, 0
	v_fma_f64 v[46:47], v[18:19], -0.5, v[46:47]
	v_fma_f64 v[48:49], v[20:21], -0.5, v[48:49]
	;; [unrolled: 1-line block ×3, first 2 shown]
	v_add_f64_e64 v[50:51], v[26:27], -v[28:29]
	v_fma_f64 v[44:45], v[44:45], -0.5, v[52:53]
	v_add_f64_e64 v[52:53], v[38:39], -v[40:41]
	v_fma_f64 v[54:55], v[54:55], -0.5, v[14:15]
	v_add_f64_e32 v[14:15], v[72:73], v[22:23]
	v_fma_f64 v[70:71], v[70:71], -0.5, v[16:17]
	v_add_f64_e32 v[16:17], v[76:77], v[24:25]
	v_add_f64_e32 v[18:19], v[78:79], v[28:29]
	;; [unrolled: 1-line block ×5, first 2 shown]
	v_fma_f64 v[26:27], v[74:75], s[4:5], v[46:47]
	s_wait_alu 0xfffe
	v_fma_f64 v[30:31], v[74:75], s[10:11], v[46:47]
	v_fma_f64 v[28:29], v[86:87], s[10:11], v[48:49]
	;; [unrolled: 1-line block ×11, first 2 shown]
	v_mul_lo_u16 v52, 0xab, v8
	v_mul_u32_u24_e32 v53, 0xaaab, v10
	v_mul_lo_u32 v50, v92, 6
	v_mul_lo_u32 v51, v93, 6
	s_delay_alu instid0(VALU_DEP_4) | instskip(NEXT) | instid1(VALU_DEP_4)
	v_lshrrev_b16 v97, 10, v52
	v_lshrrev_b32_e32 v98, 18, v53
	v_mul_lo_u16 v52, v96, 6
	s_delay_alu instid0(VALU_DEP_3) | instskip(NEXT) | instid1(VALU_DEP_3)
	v_mul_lo_u16 v53, v97, 6
	v_mul_lo_u16 v54, v98, 6
	s_delay_alu instid0(VALU_DEP_3)
	v_sub_nc_u16 v52, v58, v52
	v_or_b32_e32 v50, v50, v9
	v_or_b32_e32 v9, v51, v9
	v_sub_nc_u16 v53, v62, v53
	v_sub_nc_u16 v51, v65, v54
	v_and_b32_e32 v99, 0xff, v52
	v_lshl_add_u32 v50, v50, 4, 0
	v_lshl_add_u32 v9, v9, 4, 0
	v_and_b32_e32 v100, 0xff, v53
	v_and_b32_e32 v101, 0xffff, v51
	v_lshlrev_b32_e32 v51, 5, v99
	ds_store_b128 v11, v[14:17]
	ds_store_b128 v11, v[26:29] offset:32
	ds_store_b128 v11, v[30:33] offset:64
	ds_store_b128 v50, v[18:21]
	ds_store_b128 v50, v[34:37] offset:32
	ds_store_b128 v50, v[38:41] offset:64
	;; [unrolled: 3-line block ×3, first 2 shown]
	v_lshlrev_b32_e32 v52, 5, v100
	global_wb scope:SCOPE_SE
	s_wait_dscnt 0x0
	s_barrier_signal -1
	s_barrier_wait -1
	global_inv scope:SCOPE_SE
	s_clause 0x1
	global_load_b128 v[14:17], v51, s[8:9] offset:64
	global_load_b128 v[18:21], v51, s[8:9] offset:80
	v_lshlrev_b32_e32 v9, 5, v101
	s_clause 0x3
	global_load_b128 v[22:25], v52, s[8:9] offset:64
	global_load_b128 v[26:29], v52, s[8:9] offset:80
	;; [unrolled: 1-line block ×4, first 2 shown]
	ds_load_b128 v[38:41], v5
	ds_load_b128 v[42:45], v67 offset:12096
	ds_load_b128 v[46:49], v67 offset:8064
	;; [unrolled: 1-line block ×5, first 2 shown]
	ds_load_b128 v[78:81], v4
	ds_load_b128 v[82:85], v67
	v_mul_lo_u16 v9, v7, 57
	v_mul_lo_u16 v11, v8, 57
	;; [unrolled: 1-line block ×4, first 2 shown]
	s_delay_alu instid0(VALU_DEP_4)
	v_lshrrev_b16 v9, 10, v9
	s_wait_loadcnt_dscnt 0x507
	v_mul_f64_e32 v[54:55], v[40:41], v[16:17]
	s_wait_loadcnt_dscnt 0x406
	v_mul_f64_e32 v[86:87], v[44:45], v[20:21]
	v_mul_f64_e32 v[16:17], v[38:39], v[16:17]
	v_mul_f64_e32 v[20:21], v[42:43], v[20:21]
	s_wait_loadcnt_dscnt 0x305
	v_mul_f64_e32 v[88:89], v[48:49], v[24:25]
	s_wait_loadcnt_dscnt 0x204
	v_mul_f64_e32 v[90:91], v[52:53], v[28:29]
	v_mul_f64_e32 v[24:25], v[46:47], v[24:25]
	v_mul_f64_e32 v[28:29], v[50:51], v[28:29]
	;; [unrolled: 6-line block ×3, first 2 shown]
	v_fma_f64 v[38:39], v[38:39], v[14:15], -v[54:55]
	v_fma_f64 v[42:43], v[42:43], v[18:19], -v[86:87]
	v_fma_f64 v[40:41], v[40:41], v[14:15], v[16:17]
	v_fma_f64 v[18:19], v[44:45], v[18:19], v[20:21]
	v_fma_f64 v[20:21], v[46:47], v[22:23], -v[88:89]
	v_fma_f64 v[44:45], v[50:51], v[26:27], -v[90:91]
	v_fma_f64 v[22:23], v[48:49], v[22:23], v[24:25]
	v_fma_f64 v[24:25], v[52:53], v[26:27], v[28:29]
	;; [unrolled: 4-line block ×3, first 2 shown]
	ds_load_b128 v[14:17], v6
	global_wb scope:SCOPE_SE
	s_wait_dscnt 0x0
	s_barrier_signal -1
	s_barrier_wait -1
	global_inv scope:SCOPE_SE
	v_add_f64_e32 v[54:55], v[82:83], v[38:39]
	v_add_f64_e32 v[34:35], v[38:39], v[42:43]
	v_add_f64_e64 v[38:39], v[38:39], -v[42:43]
	v_add_f64_e32 v[36:37], v[40:41], v[18:19]
	v_add_f64_e64 v[70:71], v[40:41], -v[18:19]
	v_add_f64_e32 v[46:47], v[20:21], v[44:45]
	v_add_f64_e32 v[40:41], v[84:85], v[40:41]
	;; [unrolled: 1-line block ×9, first 2 shown]
	v_fma_f64 v[34:35], v[34:35], -0.5, v[82:83]
	v_add_f64_e64 v[82:83], v[22:23], -v[24:25]
	v_fma_f64 v[36:37], v[36:37], -0.5, v[84:85]
	v_mul_u32_u24_e32 v84, 0xe38f, v10
	v_fma_f64 v[46:47], v[46:47], -0.5, v[78:79]
	v_add_f64_e64 v[78:79], v[20:21], -v[44:45]
	v_fma_f64 v[48:49], v[48:49], -0.5, v[80:81]
	v_add_f64_e64 v[80:81], v[30:31], -v[32:33]
	;; [unrolled: 2-line block ×3, first 2 shown]
	v_fma_f64 v[52:53], v[52:53], -0.5, v[16:17]
	v_add_f64_e32 v[16:17], v[54:55], v[42:43]
	v_add_f64_e32 v[18:19], v[40:41], v[18:19]
	;; [unrolled: 1-line block ×6, first 2 shown]
	v_lshrrev_b16 v10, 10, v11
	v_lshrrev_b32_e32 v11, 20, v84
	v_and_b32_e32 v54, 0xffff, v97
	v_mul_u32_u24_e32 v55, 0x120, v98
	s_delay_alu instid0(VALU_DEP_2)
	v_mul_u32_u24_e32 v54, 0x120, v54
	v_fma_f64 v[28:29], v[70:71], s[4:5], v[34:35]
	v_fma_f64 v[32:33], v[70:71], s[10:11], v[34:35]
	;; [unrolled: 1-line block ×12, first 2 shown]
	v_mul_lo_u16 v14, v9, 18
	v_mul_lo_u16 v52, v10, 18
	;; [unrolled: 1-line block ×3, first 2 shown]
	v_and_b32_e32 v15, 0xffff, v96
	v_lshlrev_b32_e32 v71, 4, v101
	v_sub_nc_u16 v14, v58, v14
	v_sub_nc_u16 v52, v62, v52
	;; [unrolled: 1-line block ×3, first 2 shown]
	v_mul_u32_u24_e32 v70, 0x120, v15
	v_and_b32_e32 v9, 0xffff, v9
	v_and_b32_e32 v14, 0xff, v14
	;; [unrolled: 1-line block ×3, first 2 shown]
	v_lshlrev_b32_e32 v52, 4, v99
	v_and_b32_e32 v98, 0xffff, v53
	v_lshlrev_b32_e32 v53, 4, v100
	v_lshlrev_b32_e32 v72, 5, v14
	;; [unrolled: 1-line block ×3, first 2 shown]
	v_add3_u32 v52, 0, v70, v52
	v_and_b32_e32 v10, 0xffff, v10
	v_add3_u32 v53, 0, v54, v53
	v_add3_u32 v54, 0, v55, v71
	ds_store_b128 v52, v[16:19]
	ds_store_b128 v52, v[28:31] offset:96
	ds_store_b128 v52, v[32:35] offset:192
	ds_store_b128 v53, v[20:23]
	ds_store_b128 v53, v[36:39] offset:96
	ds_store_b128 v53, v[40:43] offset:192
	ds_store_b128 v54, v[24:27]
	ds_store_b128 v54, v[44:47] offset:96
	ds_store_b128 v54, v[48:51] offset:192
	global_wb scope:SCOPE_SE
	s_wait_dscnt 0x0
	s_barrier_signal -1
	s_barrier_wait -1
	global_inv scope:SCOPE_SE
	s_clause 0x1
	global_load_b128 v[16:19], v72, s[8:9] offset:256
	global_load_b128 v[20:23], v72, s[8:9] offset:272
	v_lshlrev_b32_e32 v36, 5, v98
	s_clause 0x3
	global_load_b128 v[24:27], v73, s[8:9] offset:256
	global_load_b128 v[28:31], v73, s[8:9] offset:272
	;; [unrolled: 1-line block ×4, first 2 shown]
	ds_load_b128 v[40:43], v5
	ds_load_b128 v[44:47], v67 offset:12096
	ds_load_b128 v[48:51], v67 offset:8064
	;; [unrolled: 1-line block ×5, first 2 shown]
	ds_load_b128 v[78:81], v4
	ds_load_b128 v[82:85], v67
	v_mul_u32_u24_e32 v9, 0x360, v9
	v_mul_u32_u24_e32 v10, 0x360, v10
	v_mul_u32_u24_e32 v11, 0x360, v11
	s_wait_loadcnt_dscnt 0x507
	v_mul_f64_e32 v[86:87], v[42:43], v[18:19]
	s_wait_loadcnt_dscnt 0x406
	v_mul_f64_e32 v[88:89], v[46:47], v[22:23]
	v_mul_f64_e32 v[18:19], v[40:41], v[18:19]
	v_mul_f64_e32 v[22:23], v[44:45], v[22:23]
	s_wait_loadcnt_dscnt 0x305
	v_mul_f64_e32 v[90:91], v[50:51], v[26:27]
	s_wait_loadcnt_dscnt 0x204
	v_mul_f64_e32 v[92:93], v[54:55], v[30:31]
	v_mul_f64_e32 v[26:27], v[48:49], v[26:27]
	v_mul_f64_e32 v[30:31], v[52:53], v[30:31]
	s_wait_loadcnt_dscnt 0x103
	v_mul_f64_e32 v[94:95], v[72:73], v[34:35]
	s_wait_loadcnt_dscnt 0x2
	v_mul_f64_e32 v[96:97], v[76:77], v[38:39]
	v_mul_f64_e32 v[34:35], v[70:71], v[34:35]
	v_mul_f64_e32 v[38:39], v[74:75], v[38:39]
	v_fma_f64 v[40:41], v[40:41], v[16:17], -v[86:87]
	v_fma_f64 v[44:45], v[44:45], v[20:21], -v[88:89]
	v_fma_f64 v[42:43], v[42:43], v[16:17], v[18:19]
	v_fma_f64 v[20:21], v[46:47], v[20:21], v[22:23]
	v_fma_f64 v[22:23], v[48:49], v[24:25], -v[90:91]
	v_fma_f64 v[46:47], v[52:53], v[28:29], -v[92:93]
	v_fma_f64 v[24:25], v[50:51], v[24:25], v[26:27]
	v_fma_f64 v[26:27], v[54:55], v[28:29], v[30:31]
	;; [unrolled: 4-line block ×3, first 2 shown]
	ds_load_b128 v[16:19], v6
	v_lshrrev_b16 v90, 10, v7
	v_lshrrev_b16 v91, 10, v8
	global_wb scope:SCOPE_SE
	s_wait_dscnt 0x0
	s_barrier_signal -1
	s_barrier_wait -1
	v_mul_lo_u16 v8, v90, 54
	global_inv scope:SCOPE_SE
	v_sub_nc_u16 v8, v58, v8
	s_delay_alu instid0(VALU_DEP_1)
	v_and_b32_e32 v93, 0xff, v8
	v_add_f64_e32 v[70:71], v[82:83], v[40:41]
	v_add_f64_e32 v[36:37], v[40:41], v[44:45]
	v_add_f64_e64 v[40:41], v[40:41], -v[44:45]
	v_add_f64_e32 v[38:39], v[42:43], v[20:21]
	v_add_f64_e64 v[72:73], v[42:43], -v[20:21]
	v_add_f64_e32 v[48:49], v[22:23], v[46:47]
	v_add_f64_e32 v[42:43], v[84:85], v[42:43]
	;; [unrolled: 1-line block ×9, first 2 shown]
	v_fma_f64 v[36:37], v[36:37], -0.5, v[82:83]
	v_add_f64_e64 v[82:83], v[24:25], -v[26:27]
	v_fma_f64 v[38:39], v[38:39], -0.5, v[84:85]
	v_add_f64_e64 v[84:85], v[28:29], -v[30:31]
	;; [unrolled: 2-line block ×4, first 2 shown]
	v_fma_f64 v[52:53], v[52:53], -0.5, v[16:17]
	v_lshrrev_b16 v16, 1, v65
	v_fma_f64 v[54:55], v[54:55], -0.5, v[18:19]
	v_add_f64_e32 v[18:19], v[42:43], v[20:21]
	v_add_f64_e32 v[24:25], v[86:87], v[30:31]
	;; [unrolled: 1-line block ×3, first 2 shown]
	v_and_b32_e32 v16, 0xffff, v16
	v_add_f64_e32 v[26:27], v[88:89], v[34:35]
	v_add_f64_e32 v[20:21], v[74:75], v[46:47]
	s_delay_alu instid0(VALU_DEP_3) | instskip(SKIP_1) | instid1(VALU_DEP_2)
	v_mul_u32_u24_e32 v7, 0x97b5, v16
	v_add_f64_e32 v[16:17], v[70:71], v[44:45]
	v_lshrrev_b32_e32 v92, 20, v7
	v_mul_lo_u16 v7, v91, 54
	s_delay_alu instid0(VALU_DEP_1) | instskip(NEXT) | instid1(VALU_DEP_1)
	v_sub_nc_u16 v7, v62, v7
	v_and_b32_e32 v94, 0xff, v7
	v_lshlrev_b32_e32 v7, 4, v14
	v_lshlrev_b32_e32 v14, 4, v15
	v_fma_f64 v[28:29], v[72:73], s[4:5], v[36:37]
	v_fma_f64 v[32:33], v[72:73], s[10:11], v[36:37]
	;; [unrolled: 1-line block ×12, first 2 shown]
	v_mul_lo_u16 v52, v92, 54
	v_lshlrev_b32_e32 v15, 4, v98
	v_add3_u32 v7, 0, v9, v7
	v_lshlrev_b32_e32 v53, 5, v94
	s_delay_alu instid0(VALU_DEP_4) | instskip(SKIP_2) | instid1(VALU_DEP_3)
	v_sub_nc_u16 v8, v65, v52
	v_lshlrev_b32_e32 v52, 5, v93
	v_add3_u32 v9, 0, v11, v15
	v_and_b32_e32 v95, 0xffff, v8
	v_add3_u32 v8, 0, v10, v14
	ds_store_b128 v7, v[16:19]
	ds_store_b128 v7, v[28:31] offset:288
	ds_store_b128 v7, v[32:35] offset:576
	ds_store_b128 v8, v[20:23]
	ds_store_b128 v8, v[36:39] offset:288
	ds_store_b128 v8, v[40:43] offset:576
	ds_store_b128 v9, v[24:27]
	ds_store_b128 v9, v[44:47] offset:288
	ds_store_b128 v9, v[48:51] offset:576
	global_wb scope:SCOPE_SE
	s_wait_dscnt 0x0
	s_barrier_signal -1
	s_barrier_wait -1
	global_inv scope:SCOPE_SE
	s_clause 0x1
	global_load_b128 v[7:10], v52, s[8:9] offset:832
	global_load_b128 v[14:17], v52, s[8:9] offset:848
	v_lshlrev_b32_e32 v11, 5, v95
	s_clause 0x3
	global_load_b128 v[18:21], v53, s[8:9] offset:832
	global_load_b128 v[22:25], v53, s[8:9] offset:848
	;; [unrolled: 1-line block ×4, first 2 shown]
	ds_load_b128 v[34:37], v5
	ds_load_b128 v[38:41], v67 offset:12096
	ds_load_b128 v[42:45], v67 offset:8064
	;; [unrolled: 1-line block ×5, first 2 shown]
	ds_load_b128 v[74:77], v4
	ds_load_b128 v[78:81], v67
	s_wait_loadcnt_dscnt 0x507
	v_mul_f64_e32 v[4:5], v[36:37], v[9:10]
	s_wait_loadcnt_dscnt 0x406
	v_mul_f64_e32 v[54:55], v[40:41], v[16:17]
	v_mul_f64_e32 v[9:10], v[34:35], v[9:10]
	v_mul_f64_e32 v[16:17], v[38:39], v[16:17]
	s_wait_loadcnt_dscnt 0x305
	v_mul_f64_e32 v[82:83], v[44:45], v[20:21]
	s_wait_loadcnt_dscnt 0x204
	v_mul_f64_e32 v[84:85], v[48:49], v[24:25]
	v_mul_f64_e32 v[20:21], v[42:43], v[20:21]
	v_mul_f64_e32 v[24:25], v[46:47], v[24:25]
	;; [unrolled: 6-line block ×3, first 2 shown]
	v_fma_f64 v[34:35], v[34:35], v[7:8], -v[4:5]
	v_fma_f64 v[38:39], v[38:39], v[14:15], -v[54:55]
	v_fma_f64 v[8:9], v[36:37], v[7:8], v[9:10]
	v_fma_f64 v[10:11], v[40:41], v[14:15], v[16:17]
	v_fma_f64 v[14:15], v[42:43], v[18:19], -v[82:83]
	v_fma_f64 v[36:37], v[46:47], v[22:23], -v[84:85]
	v_fma_f64 v[16:17], v[44:45], v[18:19], v[20:21]
	v_fma_f64 v[20:21], v[48:49], v[22:23], v[24:25]
	;; [unrolled: 4-line block ×3, first 2 shown]
	ds_load_b128 v[4:7], v6
	global_wb scope:SCOPE_SE
	s_wait_dscnt 0x0
	s_barrier_signal -1
	s_barrier_wait -1
	global_inv scope:SCOPE_SE
	v_add_f64_e32 v[46:47], v[78:79], v[34:35]
	v_add_f64_e32 v[28:29], v[34:35], v[38:39]
	v_add_f64_e64 v[34:35], v[34:35], -v[38:39]
	v_add_f64_e32 v[30:31], v[8:9], v[10:11]
	v_add_f64_e64 v[48:49], v[8:9], -v[10:11]
	v_add_f64_e32 v[32:33], v[14:15], v[36:37]
	v_add_f64_e32 v[8:9], v[80:81], v[8:9]
	;; [unrolled: 1-line block ×9, first 2 shown]
	v_add_f64_e64 v[82:83], v[18:19], -v[22:23]
	v_fma_f64 v[28:29], v[28:29], -0.5, v[78:79]
	v_add_f64_e64 v[78:79], v[16:17], -v[20:21]
	v_fma_f64 v[72:73], v[30:31], -0.5, v[80:81]
	v_add_f64_e64 v[80:81], v[14:15], -v[36:37]
	v_fma_f64 v[74:75], v[32:33], -0.5, v[74:75]
	v_add_f64_e32 v[14:15], v[46:47], v[38:39]
	v_fma_f64 v[40:41], v[40:41], -0.5, v[76:77]
	v_add_f64_e64 v[76:77], v[24:25], -v[26:27]
	v_fma_f64 v[42:43], v[42:43], -0.5, v[4:5]
	v_add_f64_e32 v[16:17], v[8:9], v[10:11]
	v_fma_f64 v[44:45], v[44:45], -0.5, v[6:7]
	v_add_f64_e32 v[24:25], v[70:71], v[26:27]
	v_add_f64_e32 v[18:19], v[50:51], v[36:37]
	v_add_f64_e32 v[20:21], v[52:53], v[20:21]
	v_add_f64_e32 v[22:23], v[54:55], v[22:23]
	v_lshlrev_b32_e32 v46, 4, v94
	v_lshlrev_b32_e32 v47, 4, v95
	v_add_nc_u32_e32 v70, v12, v13
	v_fma_f64 v[26:27], v[48:49], s[4:5], v[28:29]
	v_fma_f64 v[30:31], v[48:49], s[10:11], v[28:29]
	;; [unrolled: 1-line block ×12, first 2 shown]
	v_and_b32_e32 v42, 0xffff, v90
	v_and_b32_e32 v43, 0xffff, v91
	v_lshlrev_b32_e32 v45, 4, v93
	v_mul_u32_u24_e32 v44, 0xa20, v92
	s_delay_alu instid0(VALU_DEP_4) | instskip(NEXT) | instid1(VALU_DEP_4)
	v_mul_u32_u24_e32 v42, 0xa20, v42
	v_mul_u32_u24_e32 v43, 0xa20, v43
	s_delay_alu instid0(VALU_DEP_3) | instskip(NEXT) | instid1(VALU_DEP_3)
	v_add3_u32 v44, 0, v44, v47
	v_add3_u32 v42, 0, v42, v45
	s_delay_alu instid0(VALU_DEP_3)
	v_add3_u32 v43, 0, v43, v46
	ds_store_b128 v42, v[14:17]
	ds_store_b128 v42, v[26:29] offset:864
	ds_store_b128 v42, v[30:33] offset:1728
	ds_store_b128 v43, v[18:21]
	ds_store_b128 v43, v[34:37] offset:864
	ds_store_b128 v43, v[38:41] offset:1728
	;; [unrolled: 3-line block ×3, first 2 shown]
	global_wb scope:SCOPE_SE
	s_wait_dscnt 0x0
	s_barrier_signal -1
	s_barrier_wait -1
	global_inv scope:SCOPE_SE
	ds_load_b128 v[28:31], v67
	ds_load_b128 v[48:51], v67 offset:2592
	ds_load_b128 v[44:47], v67 offset:5184
	;; [unrolled: 1-line block ×6, first 2 shown]
                                        ; implicit-def: $vgpr26_vgpr27
                                        ; implicit-def: $vgpr22_vgpr23
                                        ; implicit-def: $vgpr18_vgpr19
                                        ; implicit-def: $vgpr14_vgpr15
	s_and_saveexec_b32 s4, s1
	s_cbranch_execz .LBB0_17
; %bb.16:
	ds_load_b128 v[4:7], v70
	ds_load_b128 v[8:11], v67 offset:4608
	ds_load_b128 v[0:3], v67 offset:7200
	;; [unrolled: 1-line block ×6, first 2 shown]
.LBB0_17:
	s_wait_alu 0xfffe
	s_or_b32 exec_lo, exec_lo, s4
	v_mul_u32_u24_e32 v71, 6, v58
	s_mov_b32 s10, 0x37e14327
	s_mov_b32 s12, 0xe976ee23
	;; [unrolled: 1-line block ×4, first 2 shown]
	v_lshlrev_b32_e32 v91, 4, v71
	s_mov_b32 s4, 0x429ad128
	s_mov_b32 s5, 0x3febfeb5
	s_mov_b32 s18, 0x36b3c0b5
	s_mov_b32 s19, 0x3fac98ee
	s_clause 0x5
	global_load_b128 v[71:74], v91, s[8:9] offset:2560
	global_load_b128 v[75:78], v91, s[8:9] offset:2576
	;; [unrolled: 1-line block ×6, first 2 shown]
	s_mov_b32 s14, 0xaaaaaaaa
	s_mov_b32 s22, 0xb247c609
	;; [unrolled: 1-line block ×12, first 2 shown]
	global_wb scope:SCOPE_SE
	s_wait_loadcnt_dscnt 0x0
	s_barrier_signal -1
	s_barrier_wait -1
	global_inv scope:SCOPE_SE
	v_mul_f64_e32 v[95:96], v[50:51], v[73:74]
	v_mul_f64_e32 v[73:74], v[48:49], v[73:74]
	;; [unrolled: 1-line block ×12, first 2 shown]
	v_fma_f64 v[48:49], v[48:49], v[71:72], -v[95:96]
	v_fma_f64 v[50:51], v[50:51], v[71:72], v[73:74]
	v_fma_f64 v[44:45], v[44:45], v[75:76], -v[97:98]
	v_fma_f64 v[46:47], v[46:47], v[75:76], v[77:78]
	;; [unrolled: 2-line block ×6, first 2 shown]
	v_add_f64_e32 v[71:72], v[48:49], v[52:53]
	v_add_f64_e32 v[73:74], v[50:51], v[54:55]
	;; [unrolled: 1-line block ×4, first 2 shown]
	v_add_f64_e64 v[40:41], v[44:45], -v[40:41]
	v_add_f64_e64 v[42:43], v[46:47], -v[42:43]
	v_add_f64_e32 v[44:45], v[36:37], v[32:33]
	v_add_f64_e32 v[46:47], v[38:39], v[34:35]
	v_add_f64_e64 v[32:33], v[32:33], -v[36:37]
	v_add_f64_e64 v[34:35], v[34:35], -v[38:39]
	;; [unrolled: 1-line block ×4, first 2 shown]
	v_add_f64_e32 v[48:49], v[75:76], v[71:72]
	v_add_f64_e32 v[50:51], v[77:78], v[73:74]
	v_add_f64_e64 v[52:53], v[71:72], -v[44:45]
	v_add_f64_e64 v[54:55], v[73:74], -v[46:47]
	;; [unrolled: 1-line block ×6, first 2 shown]
	v_add_f64_e32 v[40:41], v[32:33], v[40:41]
	v_add_f64_e32 v[42:43], v[34:35], v[42:43]
	v_add_f64_e64 v[32:33], v[36:37], -v[32:33]
	v_add_f64_e64 v[34:35], v[38:39], -v[34:35]
	;; [unrolled: 1-line block ×4, first 2 shown]
	v_add_f64_e32 v[48:49], v[44:45], v[48:49]
	v_add_f64_e32 v[50:51], v[46:47], v[50:51]
	v_add_f64_e64 v[44:45], v[44:45], -v[75:76]
	v_add_f64_e64 v[46:47], v[46:47], -v[77:78]
	s_wait_alu 0xfffe
	v_mul_f64_e32 v[52:53], s[10:11], v[52:53]
	v_mul_f64_e32 v[54:55], s[10:11], v[54:55]
	;; [unrolled: 1-line block ×6, first 2 shown]
	v_add_f64_e32 v[36:37], v[40:41], v[36:37]
	v_add_f64_e32 v[38:39], v[42:43], v[38:39]
	;; [unrolled: 1-line block ×4, first 2 shown]
	v_mul_f64_e32 v[75:76], s[18:19], v[44:45]
	v_mul_f64_e32 v[77:78], s[18:19], v[46:47]
	v_fma_f64 v[40:41], v[44:45], s[18:19], v[52:53]
	v_fma_f64 v[42:43], v[46:47], s[18:19], v[54:55]
	;; [unrolled: 1-line block ×4, first 2 shown]
	v_fma_f64 v[79:80], v[83:84], s[4:5], -v[79:80]
	v_fma_f64 v[81:82], v[85:86], s[4:5], -v[81:82]
	;; [unrolled: 1-line block ×6, first 2 shown]
	v_fma_f64 v[48:49], v[48:49], s[14:15], v[28:29]
	v_fma_f64 v[50:51], v[50:51], s[14:15], v[30:31]
	v_fma_f64 v[71:72], v[71:72], s[16:17], -v[75:76]
	v_fma_f64 v[73:74], v[73:74], s[16:17], -v[77:78]
	v_fma_f64 v[75:76], v[36:37], s[26:27], v[44:45]
	v_fma_f64 v[77:78], v[38:39], s[26:27], v[46:47]
	v_fma_f64 v[46:47], v[36:37], s[26:27], v[79:80]
	v_fma_f64 v[44:45], v[38:39], s[26:27], v[81:82]
	v_fma_f64 v[79:80], v[36:37], s[26:27], v[32:33]
	v_fma_f64 v[81:82], v[38:39], s[26:27], v[34:35]
	v_add_f64_e32 v[83:84], v[40:41], v[48:49]
	v_add_f64_e32 v[85:86], v[42:43], v[50:51]
	;; [unrolled: 1-line block ×7, first 2 shown]
	v_add_f64_e64 v[34:35], v[85:86], -v[75:76]
	v_add_f64_e32 v[36:37], v[81:82], v[52:53]
	v_add_f64_e64 v[38:39], v[54:55], -v[79:80]
	v_add_f64_e64 v[40:41], v[48:49], -v[44:45]
	v_add_f64_e32 v[42:43], v[46:47], v[50:51]
	v_add_f64_e32 v[44:45], v[44:45], v[48:49]
	v_add_f64_e64 v[46:47], v[50:51], -v[46:47]
	v_add_f64_e64 v[48:49], v[52:53], -v[81:82]
	v_add_f64_e32 v[50:51], v[79:80], v[54:55]
	v_add_f64_e64 v[52:53], v[83:84], -v[77:78]
	v_add_f64_e32 v[54:55], v[75:76], v[85:86]
	ds_store_b128 v67, v[28:31]
	ds_store_b128 v67, v[32:35] offset:2592
	ds_store_b128 v67, v[36:39] offset:5184
	;; [unrolled: 1-line block ×6, first 2 shown]
	s_and_saveexec_b32 s28, s1
	s_cbranch_execz .LBB0_19
; %bb.18:
	v_subrev_nc_u32_e32 v28, 36, v58
	v_mov_b32_e32 v29, 0
	s_delay_alu instid0(VALU_DEP_2) | instskip(NEXT) | instid1(VALU_DEP_1)
	v_cndmask_b32_e64 v28, v28, v62, s1
	v_mul_i32_i24_e32 v28, 6, v28
	s_delay_alu instid0(VALU_DEP_1) | instskip(NEXT) | instid1(VALU_DEP_1)
	v_lshlrev_b64_e32 v[28:29], 4, v[28:29]
	v_add_co_u32 v48, s1, s8, v28
	s_wait_alu 0xf1ff
	s_delay_alu instid0(VALU_DEP_2)
	v_add_co_ci_u32_e64 v49, s1, s9, v29, s1
	s_clause 0x5
	global_load_b128 v[28:31], v[48:49], off offset:2576
	global_load_b128 v[32:35], v[48:49], off offset:2624
	;; [unrolled: 1-line block ×6, first 2 shown]
	s_wait_loadcnt 0x5
	v_mul_f64_e32 v[52:53], v[0:1], v[30:31]
	s_wait_loadcnt 0x4
	v_mul_f64_e32 v[54:55], v[20:21], v[34:35]
	;; [unrolled: 2-line block ×4, first 2 shown]
	v_mul_f64_e32 v[30:31], v[2:3], v[30:31]
	v_mul_f64_e32 v[34:35], v[22:23], v[34:35]
	;; [unrolled: 1-line block ×4, first 2 shown]
	s_wait_loadcnt 0x1
	v_mul_f64_e32 v[75:76], v[18:19], v[46:47]
	s_wait_loadcnt 0x0
	v_mul_f64_e32 v[77:78], v[14:15], v[50:51]
	v_mul_f64_e32 v[50:51], v[12:13], v[50:51]
	;; [unrolled: 1-line block ×3, first 2 shown]
	v_fma_f64 v[2:3], v[2:3], v[28:29], v[52:53]
	v_fma_f64 v[22:23], v[22:23], v[32:33], v[54:55]
	v_fma_f64 v[10:11], v[10:11], v[36:37], v[71:72]
	v_fma_f64 v[26:27], v[26:27], v[40:41], v[73:74]
	v_fma_f64 v[0:1], v[0:1], v[28:29], -v[30:31]
	v_fma_f64 v[20:21], v[20:21], v[32:33], -v[34:35]
	v_fma_f64 v[8:9], v[8:9], v[36:37], -v[38:39]
	v_fma_f64 v[24:25], v[24:25], v[40:41], -v[42:43]
	v_fma_f64 v[16:17], v[16:17], v[44:45], -v[75:76]
	v_fma_f64 v[12:13], v[12:13], v[48:49], -v[77:78]
	v_fma_f64 v[14:15], v[14:15], v[48:49], v[50:51]
	v_fma_f64 v[18:19], v[18:19], v[44:45], v[46:47]
	v_add_f64_e32 v[28:29], v[2:3], v[22:23]
	v_add_f64_e64 v[2:3], v[2:3], -v[22:23]
	v_add_f64_e32 v[30:31], v[10:11], v[26:27]
	v_add_f64_e64 v[10:11], v[10:11], -v[26:27]
	;; [unrolled: 2-line block ×4, first 2 shown]
	v_add_f64_e64 v[36:37], v[16:17], -v[12:13]
	v_add_f64_e32 v[12:13], v[12:13], v[16:17]
	v_add_f64_e32 v[20:21], v[14:15], v[18:19]
	v_add_f64_e64 v[14:15], v[18:19], -v[14:15]
	v_add_f64_e32 v[16:17], v[28:29], v[30:31]
	v_add_f64_e64 v[42:43], v[2:3], -v[10:11]
	;; [unrolled: 2-line block ×3, first 2 shown]
	v_add_f64_e64 v[22:23], v[36:37], -v[0:1]
	v_add_f64_e64 v[26:27], v[34:35], -v[12:13]
	;; [unrolled: 1-line block ×4, first 2 shown]
	v_add_f64_e32 v[44:45], v[36:37], v[0:1]
	v_add_f64_e64 v[36:37], v[8:9], -v[36:37]
	v_add_f64_e32 v[46:47], v[14:15], v[2:3]
	v_add_f64_e64 v[14:15], v[10:11], -v[14:15]
	;; [unrolled: 2-line block ×4, first 2 shown]
	v_mul_f64_e32 v[22:23], s[12:13], v[22:23]
	v_mul_f64_e32 v[26:27], s[10:11], v[26:27]
	;; [unrolled: 1-line block ×4, first 2 shown]
	v_add_f64_e32 v[8:9], v[44:45], v[8:9]
	v_add_f64_e32 v[10:11], v[46:47], v[10:11]
	;; [unrolled: 1-line block ×3, first 2 shown]
	v_add_f64_e64 v[6:7], v[28:29], -v[30:31]
	v_mul_f64_e32 v[28:29], s[18:19], v[20:21]
	v_mul_f64_e32 v[30:31], s[12:13], v[40:41]
	v_add_f64_e32 v[0:1], v[4:5], v[18:19]
	v_mul_f64_e32 v[40:41], s[4:5], v[42:43]
	v_add_f64_e64 v[4:5], v[32:33], -v[34:35]
	v_mul_f64_e32 v[32:33], s[18:19], v[12:13]
	v_fma_f64 v[34:35], v[36:37], s[22:23], v[22:23]
	v_fma_f64 v[20:21], v[20:21], s[18:19], v[24:25]
	;; [unrolled: 1-line block ×3, first 2 shown]
	v_fma_f64 v[36:37], v[36:37], s[24:25], -v[48:49]
	v_fma_f64 v[22:23], v[38:39], s[4:5], -v[22:23]
	v_fma_f64 v[16:17], v[16:17], s[14:15], v[2:3]
	v_fma_f64 v[24:25], v[6:7], s[20:21], -v[24:25]
	v_fma_f64 v[6:7], v[6:7], s[16:17], -v[28:29]
	v_fma_f64 v[28:29], v[14:15], s[22:23], v[30:31]
	v_fma_f64 v[18:19], v[18:19], s[14:15], v[0:1]
	v_fma_f64 v[14:15], v[14:15], s[24:25], -v[40:41]
	v_fma_f64 v[26:27], v[4:5], s[20:21], -v[26:27]
	;; [unrolled: 1-line block ×4, first 2 shown]
	v_fma_f64 v[32:33], v[8:9], s[26:27], v[34:35]
	v_fma_f64 v[34:35], v[8:9], s[26:27], v[36:37]
	;; [unrolled: 1-line block ×3, first 2 shown]
	v_add_f64_e32 v[20:21], v[20:21], v[16:17]
	v_add_f64_e32 v[22:23], v[24:25], v[16:17]
	;; [unrolled: 1-line block ×3, first 2 shown]
	v_fma_f64 v[28:29], v[10:11], s[26:27], v[28:29]
	v_add_f64_e32 v[38:39], v[12:13], v[18:19]
	v_fma_f64 v[36:37], v[10:11], s[26:27], v[14:15]
	v_add_f64_e32 v[40:41], v[26:27], v[18:19]
	;; [unrolled: 2-line block ×3, first 2 shown]
	v_add_f64_e64 v[26:27], v[20:21], -v[32:33]
	v_add_f64_e32 v[6:7], v[32:33], v[20:21]
	v_add_f64_e32 v[10:11], v[34:35], v[22:23]
	v_add_f64_e64 v[22:23], v[22:23], -v[34:35]
	v_add_f64_e32 v[24:25], v[28:29], v[38:39]
	v_add_f64_e64 v[14:15], v[16:17], -v[8:9]
	v_add_f64_e32 v[20:21], v[36:37], v[40:41]
	v_add_f64_e32 v[18:19], v[8:9], v[16:17]
	v_add_f64_e64 v[16:17], v[4:5], -v[30:31]
	v_add_f64_e32 v[12:13], v[30:31], v[4:5]
	v_add_f64_e64 v[8:9], v[40:41], -v[36:37]
	v_add_f64_e64 v[4:5], v[38:39], -v[28:29]
	ds_store_b128 v67, v[0:3] offset:2016
	ds_store_b128 v67, v[24:27] offset:4608
	;; [unrolled: 1-line block ×7, first 2 shown]
.LBB0_19:
	s_wait_alu 0xfffe
	s_or_b32 exec_lo, exec_lo, s28
	global_wb scope:SCOPE_SE
	s_wait_dscnt 0x0
	s_barrier_signal -1
	s_barrier_wait -1
	global_inv scope:SCOPE_SE
	ds_load_b128 v[0:3], v67
	v_sub_nc_u32_e32 v8, 0, v59
	s_mov_b32 s4, exec_lo
                                        ; implicit-def: $vgpr6_vgpr7
                                        ; implicit-def: $vgpr4_vgpr5
	v_cmpx_ne_u32_e32 0, v58
	s_wait_alu 0xfffe
	s_xor_b32 s4, exec_lo, s4
	s_cbranch_execz .LBB0_21
; %bb.20:
	v_mov_b32_e32 v59, 0
	s_delay_alu instid0(VALU_DEP_1) | instskip(NEXT) | instid1(VALU_DEP_1)
	v_lshlrev_b64_e32 v[4:5], 4, v[58:59]
	v_add_co_u32 v4, s1, s8, v4
	s_wait_alu 0xf1ff
	s_delay_alu instid0(VALU_DEP_2)
	v_add_co_ci_u32_e64 v5, s1, s9, v5, s1
	global_load_b128 v[9:12], v[4:5], off offset:18112
	ds_load_b128 v[4:7], v8 offset:18144
	s_wait_dscnt 0x0
	v_add_f64_e64 v[13:14], v[0:1], -v[4:5]
	v_add_f64_e32 v[15:16], v[2:3], v[6:7]
	v_add_f64_e64 v[2:3], v[2:3], -v[6:7]
	v_add_f64_e32 v[0:1], v[0:1], v[4:5]
	s_delay_alu instid0(VALU_DEP_4) | instskip(NEXT) | instid1(VALU_DEP_4)
	v_mul_f64_e32 v[6:7], 0.5, v[13:14]
	v_mul_f64_e32 v[13:14], 0.5, v[15:16]
	s_delay_alu instid0(VALU_DEP_4) | instskip(SKIP_1) | instid1(VALU_DEP_3)
	v_mul_f64_e32 v[2:3], 0.5, v[2:3]
	s_wait_loadcnt 0x0
	v_mul_f64_e32 v[4:5], v[6:7], v[11:12]
	s_delay_alu instid0(VALU_DEP_2) | instskip(SKIP_1) | instid1(VALU_DEP_3)
	v_fma_f64 v[15:16], v[13:14], v[11:12], v[2:3]
	v_fma_f64 v[2:3], v[13:14], v[11:12], -v[2:3]
	v_fma_f64 v[11:12], v[0:1], 0.5, v[4:5]
	v_fma_f64 v[0:1], v[0:1], 0.5, -v[4:5]
	s_delay_alu instid0(VALU_DEP_4) | instskip(NEXT) | instid1(VALU_DEP_4)
	v_fma_f64 v[15:16], -v[9:10], v[6:7], v[15:16]
	v_fma_f64 v[2:3], -v[9:10], v[6:7], v[2:3]
	ds_store_b64 v67, v[15:16] offset:8
	ds_store_b64 v8, v[2:3] offset:18152
	v_fma_f64 v[4:5], v[13:14], v[9:10], v[11:12]
	v_fma_f64 v[6:7], -v[13:14], v[9:10], v[0:1]
                                        ; implicit-def: $vgpr0_vgpr1
.LBB0_21:
	s_wait_alu 0xfffe
	s_or_saveexec_b32 s1, s4
	v_sub_nc_u32_e32 v9, 0, v63
	v_sub_nc_u32_e32 v10, 0, v66
	s_wait_alu 0xfffe
	s_xor_b32 exec_lo, exec_lo, s1
	s_cbranch_execz .LBB0_23
; %bb.22:
	s_wait_dscnt 0x0
	v_add_f64_e32 v[4:5], v[0:1], v[2:3]
	v_add_f64_e64 v[6:7], v[0:1], -v[2:3]
	s_mov_b32 s4, 0
	v_mov_b32_e32 v2, 0
	s_wait_alu 0xfffe
	s_mov_b32 s5, s4
	s_wait_alu 0xfffe
	v_dual_mov_b32 v0, s4 :: v_dual_mov_b32 v1, s5
	ds_store_b64 v67, v[0:1] offset:8
	ds_store_b64 v8, v[0:1] offset:18152
	ds_load_b64 v[0:1], v2 offset:9080
	s_wait_dscnt 0x0
	v_xor_b32_e32 v1, 0x80000000, v1
	ds_store_b64 v2, v[0:1] offset:9080
.LBB0_23:
	s_or_b32 exec_lo, exec_lo, s1
	v_dual_mov_b32 v63, 0 :: v_dual_add_nc_u32 v10, v69, v10
	s_wait_dscnt 0x0
	s_delay_alu instid0(VALU_DEP_1) | instskip(SKIP_1) | instid1(VALU_DEP_1)
	v_lshlrev_b64_e32 v[0:1], 4, v[62:63]
	v_mov_b32_e32 v66, v63
	v_lshlrev_b64_e32 v[11:12], 4, v[65:66]
	v_mov_b32_e32 v65, v63
	s_delay_alu instid0(VALU_DEP_4) | instskip(SKIP_2) | instid1(VALU_DEP_4)
	v_add_co_u32 v0, s1, s8, v0
	s_wait_alu 0xf1ff
	v_add_co_ci_u32_e64 v1, s1, s9, v1, s1
	v_add_co_u32 v11, s1, s8, v11
	s_wait_alu 0xf1ff
	v_add_co_ci_u32_e64 v12, s1, s9, v12, s1
	s_clause 0x1
	global_load_b128 v[0:3], v[0:1], off offset:18112
	global_load_b128 v[11:14], v[11:12], off offset:18112
	ds_store_b64 v67, v[4:5]
	ds_store_b64 v8, v[6:7] offset:18144
	ds_load_b128 v[4:7], v70
	ds_load_b128 v[15:18], v8 offset:16128
	s_wait_dscnt 0x0
	v_add_f64_e64 v[19:20], v[4:5], -v[15:16]
	v_add_f64_e32 v[21:22], v[6:7], v[17:18]
	v_add_f64_e64 v[6:7], v[6:7], -v[17:18]
	v_add_f64_e32 v[4:5], v[4:5], v[15:16]
	s_delay_alu instid0(VALU_DEP_4) | instskip(NEXT) | instid1(VALU_DEP_4)
	v_mul_f64_e32 v[17:18], 0.5, v[19:20]
	v_mul_f64_e32 v[19:20], 0.5, v[21:22]
	s_delay_alu instid0(VALU_DEP_4) | instskip(SKIP_1) | instid1(VALU_DEP_3)
	v_mul_f64_e32 v[6:7], 0.5, v[6:7]
	s_wait_loadcnt 0x1
	v_mul_f64_e32 v[15:16], v[17:18], v[2:3]
	s_delay_alu instid0(VALU_DEP_2) | instskip(SKIP_1) | instid1(VALU_DEP_3)
	v_fma_f64 v[21:22], v[19:20], v[2:3], v[6:7]
	v_fma_f64 v[2:3], v[19:20], v[2:3], -v[6:7]
	v_fma_f64 v[6:7], v[4:5], 0.5, v[15:16]
	v_fma_f64 v[15:16], v[4:5], 0.5, -v[15:16]
	s_delay_alu instid0(VALU_DEP_4) | instskip(NEXT) | instid1(VALU_DEP_4)
	v_fma_f64 v[4:5], -v[0:1], v[17:18], v[21:22]
	v_fma_f64 v[17:18], -v[0:1], v[17:18], v[2:3]
	s_delay_alu instid0(VALU_DEP_4) | instskip(NEXT) | instid1(VALU_DEP_4)
	v_fma_f64 v[2:3], v[19:20], v[0:1], v[6:7]
	v_fma_f64 v[15:16], -v[19:20], v[0:1], v[15:16]
	v_lshlrev_b64_e32 v[0:1], 4, v[64:65]
	s_delay_alu instid0(VALU_DEP_1) | instskip(SKIP_1) | instid1(VALU_DEP_2)
	v_add_co_u32 v0, s1, s8, v0
	s_wait_alu 0xf1ff
	v_add_co_ci_u32_e64 v1, s1, s9, v1, s1
	global_load_b128 v[19:22], v[0:1], off offset:18112
	ds_store_b128 v70, v[2:5]
	ds_store_b128 v8, v[15:18] offset:16128
	ds_load_b128 v[0:3], v10
	ds_load_b128 v[4:7], v8 offset:14112
	s_wait_dscnt 0x0
	v_add_f64_e64 v[15:16], v[0:1], -v[4:5]
	v_add_f64_e32 v[17:18], v[2:3], v[6:7]
	v_add_f64_e64 v[2:3], v[2:3], -v[6:7]
	v_add_f64_e32 v[0:1], v[0:1], v[4:5]
	s_delay_alu instid0(VALU_DEP_4) | instskip(NEXT) | instid1(VALU_DEP_4)
	v_mul_f64_e32 v[6:7], 0.5, v[15:16]
	v_mul_f64_e32 v[15:16], 0.5, v[17:18]
	s_delay_alu instid0(VALU_DEP_4) | instskip(SKIP_1) | instid1(VALU_DEP_3)
	v_mul_f64_e32 v[2:3], 0.5, v[2:3]
	s_wait_loadcnt 0x1
	v_mul_f64_e32 v[4:5], v[6:7], v[13:14]
	s_delay_alu instid0(VALU_DEP_2) | instskip(SKIP_1) | instid1(VALU_DEP_3)
	v_fma_f64 v[17:18], v[15:16], v[13:14], v[2:3]
	v_fma_f64 v[13:14], v[15:16], v[13:14], -v[2:3]
	v_fma_f64 v[23:24], v[0:1], 0.5, v[4:5]
	v_fma_f64 v[4:5], v[0:1], 0.5, -v[4:5]
	s_delay_alu instid0(VALU_DEP_4) | instskip(NEXT) | instid1(VALU_DEP_4)
	v_fma_f64 v[2:3], -v[11:12], v[6:7], v[17:18]
	v_fma_f64 v[6:7], -v[11:12], v[6:7], v[13:14]
	v_add_nc_u32_e32 v17, v68, v9
	v_fma_f64 v[0:1], v[15:16], v[11:12], v[23:24]
	v_fma_f64 v[4:5], -v[15:16], v[11:12], v[4:5]
	ds_store_b128 v10, v[0:3]
	ds_store_b128 v8, v[4:7] offset:14112
	ds_load_b128 v[0:3], v17
	ds_load_b128 v[4:7], v8 offset:12096
	s_wait_dscnt 0x0
	v_add_f64_e64 v[9:10], v[0:1], -v[4:5]
	v_add_f64_e32 v[11:12], v[2:3], v[6:7]
	v_add_f64_e64 v[2:3], v[2:3], -v[6:7]
	v_add_f64_e32 v[0:1], v[0:1], v[4:5]
	s_delay_alu instid0(VALU_DEP_4) | instskip(NEXT) | instid1(VALU_DEP_4)
	v_mul_f64_e32 v[6:7], 0.5, v[9:10]
	v_mul_f64_e32 v[9:10], 0.5, v[11:12]
	s_delay_alu instid0(VALU_DEP_4) | instskip(SKIP_1) | instid1(VALU_DEP_3)
	v_mul_f64_e32 v[2:3], 0.5, v[2:3]
	s_wait_loadcnt 0x0
	v_mul_f64_e32 v[4:5], v[6:7], v[21:22]
	s_delay_alu instid0(VALU_DEP_2) | instskip(SKIP_1) | instid1(VALU_DEP_3)
	v_fma_f64 v[11:12], v[9:10], v[21:22], v[2:3]
	v_fma_f64 v[13:14], v[9:10], v[21:22], -v[2:3]
	v_fma_f64 v[15:16], v[0:1], 0.5, v[4:5]
	v_fma_f64 v[4:5], v[0:1], 0.5, -v[4:5]
	s_delay_alu instid0(VALU_DEP_4) | instskip(NEXT) | instid1(VALU_DEP_4)
	v_fma_f64 v[2:3], -v[19:20], v[6:7], v[11:12]
	v_fma_f64 v[6:7], -v[19:20], v[6:7], v[13:14]
	s_delay_alu instid0(VALU_DEP_4) | instskip(NEXT) | instid1(VALU_DEP_4)
	v_fma_f64 v[0:1], v[9:10], v[19:20], v[15:16]
	v_fma_f64 v[4:5], -v[9:10], v[19:20], v[4:5]
	ds_store_b128 v17, v[0:3]
	ds_store_b128 v8, v[4:7] offset:12096
	s_and_saveexec_b32 s1, s0
	s_cbranch_execz .LBB0_25
; %bb.24:
	v_mov_b32_e32 v59, v63
	s_add_nc_u64 s[4:5], s[8:9], 0x46c0
	s_delay_alu instid0(VALU_DEP_1) | instskip(SKIP_1) | instid1(VALU_DEP_1)
	v_lshlrev_b64_e32 v[0:1], 4, v[58:59]
	s_wait_alu 0xfffe
	v_add_co_u32 v0, s0, s4, v0
	s_wait_alu 0xf1ff
	s_delay_alu instid0(VALU_DEP_2)
	v_add_co_ci_u32_e64 v1, s0, s5, v1, s0
	global_load_b128 v[0:3], v[0:1], off offset:8064
	ds_load_b128 v[4:7], v67 offset:8064
	ds_load_b128 v[9:12], v8 offset:10080
	s_wait_dscnt 0x0
	v_add_f64_e64 v[13:14], v[4:5], -v[9:10]
	v_add_f64_e32 v[15:16], v[6:7], v[11:12]
	v_add_f64_e64 v[6:7], v[6:7], -v[11:12]
	v_add_f64_e32 v[4:5], v[4:5], v[9:10]
	s_delay_alu instid0(VALU_DEP_4) | instskip(NEXT) | instid1(VALU_DEP_4)
	v_mul_f64_e32 v[11:12], 0.5, v[13:14]
	v_mul_f64_e32 v[13:14], 0.5, v[15:16]
	s_delay_alu instid0(VALU_DEP_4) | instskip(SKIP_1) | instid1(VALU_DEP_3)
	v_mul_f64_e32 v[6:7], 0.5, v[6:7]
	s_wait_loadcnt 0x0
	v_mul_f64_e32 v[9:10], v[11:12], v[2:3]
	s_delay_alu instid0(VALU_DEP_2) | instskip(SKIP_1) | instid1(VALU_DEP_3)
	v_fma_f64 v[15:16], v[13:14], v[2:3], v[6:7]
	v_fma_f64 v[2:3], v[13:14], v[2:3], -v[6:7]
	v_fma_f64 v[6:7], v[4:5], 0.5, v[9:10]
	v_fma_f64 v[9:10], v[4:5], 0.5, -v[9:10]
	s_delay_alu instid0(VALU_DEP_4) | instskip(NEXT) | instid1(VALU_DEP_4)
	v_fma_f64 v[4:5], -v[0:1], v[11:12], v[15:16]
	v_fma_f64 v[11:12], -v[0:1], v[11:12], v[2:3]
	s_delay_alu instid0(VALU_DEP_4) | instskip(NEXT) | instid1(VALU_DEP_4)
	v_fma_f64 v[2:3], v[13:14], v[0:1], v[6:7]
	v_fma_f64 v[9:10], -v[13:14], v[0:1], v[9:10]
	ds_store_b128 v67, v[2:5] offset:8064
	ds_store_b128 v8, v[9:12] offset:10080
.LBB0_25:
	s_wait_alu 0xfffe
	s_or_b32 exec_lo, exec_lo, s1
	global_wb scope:SCOPE_SE
	s_wait_dscnt 0x0
	s_barrier_signal -1
	s_barrier_wait -1
	global_inv scope:SCOPE_SE
	s_and_saveexec_b32 s0, vcc_lo
	s_cbranch_execz .LBB0_28
; %bb.26:
	v_mul_lo_u32 v2, s3, v60
	v_mul_lo_u32 v3, s2, v61
	v_mad_co_u64_u32 v[0:1], null, s2, v60, 0
	v_dual_mov_b32 v59, 0 :: v_dual_add_nc_u32 v12, 0x7e, v58
	v_lshlrev_b64_e32 v[10:11], 4, v[56:57]
	v_lshl_add_u32 v31, v58, 4, 0
	s_delay_alu instid0(VALU_DEP_3)
	v_dual_mov_b32 v13, v59 :: v_dual_add_nc_u32 v14, 0xfc, v58
	v_add3_u32 v1, v1, v3, v2
	v_lshlrev_b64_e32 v[16:17], 4, v[58:59]
	v_dual_mov_b32 v15, v59 :: v_dual_add_nc_u32 v24, 0x17a, v58
	ds_load_b128 v[2:5], v31
	ds_load_b128 v[6:9], v31 offset:2016
	v_lshlrev_b64_e32 v[0:1], 4, v[0:1]
	v_lshlrev_b64_e32 v[18:19], 4, v[12:13]
	;; [unrolled: 1-line block ×3, first 2 shown]
	v_dual_mov_b32 v25, v59 :: v_dual_add_nc_u32 v26, 0x1f8, v58
	v_mov_b32_e32 v27, v59
	v_add_co_u32 v0, vcc_lo, s6, v0
	s_wait_alu 0xfffd
	v_add_co_ci_u32_e32 v1, vcc_lo, s7, v1, vcc_lo
	v_lshlrev_b64_e32 v[24:25], 4, v[24:25]
	s_delay_alu instid0(VALU_DEP_3) | instskip(SKIP_1) | instid1(VALU_DEP_3)
	v_add_co_u32 v0, vcc_lo, v0, v10
	s_wait_alu 0xfffd
	v_add_co_ci_u32_e32 v1, vcc_lo, v1, v11, vcc_lo
	v_add_nc_u32_e32 v30, 0x3f0, v58
	s_delay_alu instid0(VALU_DEP_3) | instskip(SKIP_1) | instid1(VALU_DEP_3)
	v_add_co_u32 v22, vcc_lo, v0, v16
	s_wait_alu 0xfffd
	v_add_co_ci_u32_e32 v23, vcc_lo, v1, v17, vcc_lo
	ds_load_b128 v[10:13], v31 offset:4032
	ds_load_b128 v[14:17], v31 offset:6048
	v_add_co_u32 v18, vcc_lo, v0, v18
	s_wait_alu 0xfffd
	v_add_co_ci_u32_e32 v19, vcc_lo, v1, v19, vcc_lo
	v_add_co_u32 v20, vcc_lo, v0, v20
	s_wait_alu 0xfffd
	v_add_co_ci_u32_e32 v21, vcc_lo, v1, v21, vcc_lo
	;; [unrolled: 3-line block ×3, first 2 shown]
	s_wait_dscnt 0x3
	global_store_b128 v[22:23], v[2:5], off
	s_wait_dscnt 0x2
	global_store_b128 v[18:19], v[6:9], off
	v_mov_b32_e32 v19, v59
	s_wait_dscnt 0x1
	global_store_b128 v[20:21], v[10:13], off
	s_wait_dscnt 0x0
	global_store_b128 v[24:25], v[14:17], off
	v_dual_mov_b32 v11, v59 :: v_dual_add_nc_u32 v10, 0x276, v58
	v_add_nc_u32_e32 v12, 0x2f4, v58
	v_lshlrev_b64_e32 v[2:3], 4, v[26:27]
	v_dual_mov_b32 v13, v59 :: v_dual_add_nc_u32 v18, 0x372, v58
	s_delay_alu instid0(VALU_DEP_4) | instskip(NEXT) | instid1(VALU_DEP_3)
	v_lshlrev_b64_e32 v[10:11], 4, v[10:11]
	v_add_co_u32 v22, vcc_lo, v0, v2
	s_wait_alu 0xfffd
	s_delay_alu instid0(VALU_DEP_4) | instskip(NEXT) | instid1(VALU_DEP_3)
	v_add_co_ci_u32_e32 v23, vcc_lo, v1, v3, vcc_lo
	v_add_co_u32 v24, vcc_lo, v0, v10
	ds_load_b128 v[2:5], v31 offset:8064
	ds_load_b128 v[6:9], v31 offset:10080
	s_wait_alu 0xfffd
	v_add_co_ci_u32_e32 v25, vcc_lo, v1, v11, vcc_lo
	v_lshlrev_b64_e32 v[26:27], 4, v[12:13]
	ds_load_b128 v[10:13], v31 offset:12096
	ds_load_b128 v[14:17], v31 offset:14112
	v_lshlrev_b64_e32 v[28:29], 4, v[18:19]
	ds_load_b128 v[18:21], v31 offset:16128
	v_mov_b32_e32 v31, v59
	v_add_co_u32 v26, vcc_lo, v0, v26
	s_wait_alu 0xfffd
	v_add_co_ci_u32_e32 v27, vcc_lo, v1, v27, vcc_lo
	s_delay_alu instid0(VALU_DEP_3) | instskip(SKIP_3) | instid1(VALU_DEP_3)
	v_lshlrev_b64_e32 v[30:31], 4, v[30:31]
	v_add_co_u32 v28, vcc_lo, v0, v28
	s_wait_alu 0xfffd
	v_add_co_ci_u32_e32 v29, vcc_lo, v1, v29, vcc_lo
	v_add_co_u32 v30, vcc_lo, v0, v30
	s_wait_alu 0xfffd
	v_add_co_ci_u32_e32 v31, vcc_lo, v1, v31, vcc_lo
	v_cmp_eq_u32_e32 vcc_lo, 0x7d, v58
	s_wait_dscnt 0x4
	global_store_b128 v[22:23], v[2:5], off
	s_wait_dscnt 0x3
	global_store_b128 v[24:25], v[6:9], off
	s_wait_dscnt 0x2
	global_store_b128 v[26:27], v[10:13], off
	s_wait_dscnt 0x1
	global_store_b128 v[28:29], v[14:17], off
	s_wait_dscnt 0x0
	global_store_b128 v[30:31], v[18:21], off
	s_and_b32 exec_lo, exec_lo, vcc_lo
	s_cbranch_execz .LBB0_28
; %bb.27:
	ds_load_b128 v[2:5], v59 offset:18144
	s_wait_dscnt 0x0
	global_store_b128 v[0:1], v[2:5], off offset:18144
.LBB0_28:
	s_nop 0
	s_sendmsg sendmsg(MSG_DEALLOC_VGPRS)
	s_endpgm
	.section	.rodata,"a",@progbits
	.p2align	6, 0x0
	.amdhsa_kernel fft_rtc_fwd_len1134_factors_2_3_3_3_3_7_wgs_126_tpt_126_dp_op_CI_CI_unitstride_sbrr_R2C_dirReg
		.amdhsa_group_segment_fixed_size 0
		.amdhsa_private_segment_fixed_size 0
		.amdhsa_kernarg_size 104
		.amdhsa_user_sgpr_count 2
		.amdhsa_user_sgpr_dispatch_ptr 0
		.amdhsa_user_sgpr_queue_ptr 0
		.amdhsa_user_sgpr_kernarg_segment_ptr 1
		.amdhsa_user_sgpr_dispatch_id 0
		.amdhsa_user_sgpr_private_segment_size 0
		.amdhsa_wavefront_size32 1
		.amdhsa_uses_dynamic_stack 0
		.amdhsa_enable_private_segment 0
		.amdhsa_system_sgpr_workgroup_id_x 1
		.amdhsa_system_sgpr_workgroup_id_y 0
		.amdhsa_system_sgpr_workgroup_id_z 0
		.amdhsa_system_sgpr_workgroup_info 0
		.amdhsa_system_vgpr_workitem_id 0
		.amdhsa_next_free_vgpr 107
		.amdhsa_next_free_sgpr 39
		.amdhsa_reserve_vcc 1
		.amdhsa_float_round_mode_32 0
		.amdhsa_float_round_mode_16_64 0
		.amdhsa_float_denorm_mode_32 3
		.amdhsa_float_denorm_mode_16_64 3
		.amdhsa_fp16_overflow 0
		.amdhsa_workgroup_processor_mode 1
		.amdhsa_memory_ordered 1
		.amdhsa_forward_progress 0
		.amdhsa_round_robin_scheduling 0
		.amdhsa_exception_fp_ieee_invalid_op 0
		.amdhsa_exception_fp_denorm_src 0
		.amdhsa_exception_fp_ieee_div_zero 0
		.amdhsa_exception_fp_ieee_overflow 0
		.amdhsa_exception_fp_ieee_underflow 0
		.amdhsa_exception_fp_ieee_inexact 0
		.amdhsa_exception_int_div_zero 0
	.end_amdhsa_kernel
	.text
.Lfunc_end0:
	.size	fft_rtc_fwd_len1134_factors_2_3_3_3_3_7_wgs_126_tpt_126_dp_op_CI_CI_unitstride_sbrr_R2C_dirReg, .Lfunc_end0-fft_rtc_fwd_len1134_factors_2_3_3_3_3_7_wgs_126_tpt_126_dp_op_CI_CI_unitstride_sbrr_R2C_dirReg
                                        ; -- End function
	.section	.AMDGPU.csdata,"",@progbits
; Kernel info:
; codeLenInByte = 9932
; NumSgprs: 41
; NumVgprs: 107
; ScratchSize: 0
; MemoryBound: 0
; FloatMode: 240
; IeeeMode: 1
; LDSByteSize: 0 bytes/workgroup (compile time only)
; SGPRBlocks: 5
; VGPRBlocks: 13
; NumSGPRsForWavesPerEU: 41
; NumVGPRsForWavesPerEU: 107
; Occupancy: 12
; WaveLimiterHint : 1
; COMPUTE_PGM_RSRC2:SCRATCH_EN: 0
; COMPUTE_PGM_RSRC2:USER_SGPR: 2
; COMPUTE_PGM_RSRC2:TRAP_HANDLER: 0
; COMPUTE_PGM_RSRC2:TGID_X_EN: 1
; COMPUTE_PGM_RSRC2:TGID_Y_EN: 0
; COMPUTE_PGM_RSRC2:TGID_Z_EN: 0
; COMPUTE_PGM_RSRC2:TIDIG_COMP_CNT: 0
	.text
	.p2alignl 7, 3214868480
	.fill 96, 4, 3214868480
	.type	__hip_cuid_7ed433990db234e4,@object ; @__hip_cuid_7ed433990db234e4
	.section	.bss,"aw",@nobits
	.globl	__hip_cuid_7ed433990db234e4
__hip_cuid_7ed433990db234e4:
	.byte	0                               ; 0x0
	.size	__hip_cuid_7ed433990db234e4, 1

	.ident	"AMD clang version 19.0.0git (https://github.com/RadeonOpenCompute/llvm-project roc-6.4.0 25133 c7fe45cf4b819c5991fe208aaa96edf142730f1d)"
	.section	".note.GNU-stack","",@progbits
	.addrsig
	.addrsig_sym __hip_cuid_7ed433990db234e4
	.amdgpu_metadata
---
amdhsa.kernels:
  - .args:
      - .actual_access:  read_only
        .address_space:  global
        .offset:         0
        .size:           8
        .value_kind:     global_buffer
      - .offset:         8
        .size:           8
        .value_kind:     by_value
      - .actual_access:  read_only
        .address_space:  global
        .offset:         16
        .size:           8
        .value_kind:     global_buffer
      - .actual_access:  read_only
        .address_space:  global
        .offset:         24
        .size:           8
        .value_kind:     global_buffer
      - .actual_access:  read_only
        .address_space:  global
        .offset:         32
        .size:           8
        .value_kind:     global_buffer
      - .offset:         40
        .size:           8
        .value_kind:     by_value
      - .actual_access:  read_only
        .address_space:  global
        .offset:         48
        .size:           8
        .value_kind:     global_buffer
      - .actual_access:  read_only
        .address_space:  global
        .offset:         56
        .size:           8
        .value_kind:     global_buffer
      - .offset:         64
        .size:           4
        .value_kind:     by_value
      - .actual_access:  read_only
        .address_space:  global
        .offset:         72
        .size:           8
        .value_kind:     global_buffer
      - .actual_access:  read_only
        .address_space:  global
        .offset:         80
        .size:           8
        .value_kind:     global_buffer
      - .actual_access:  read_only
        .address_space:  global
        .offset:         88
        .size:           8
        .value_kind:     global_buffer
      - .actual_access:  write_only
        .address_space:  global
        .offset:         96
        .size:           8
        .value_kind:     global_buffer
    .group_segment_fixed_size: 0
    .kernarg_segment_align: 8
    .kernarg_segment_size: 104
    .language:       OpenCL C
    .language_version:
      - 2
      - 0
    .max_flat_workgroup_size: 126
    .name:           fft_rtc_fwd_len1134_factors_2_3_3_3_3_7_wgs_126_tpt_126_dp_op_CI_CI_unitstride_sbrr_R2C_dirReg
    .private_segment_fixed_size: 0
    .sgpr_count:     41
    .sgpr_spill_count: 0
    .symbol:         fft_rtc_fwd_len1134_factors_2_3_3_3_3_7_wgs_126_tpt_126_dp_op_CI_CI_unitstride_sbrr_R2C_dirReg.kd
    .uniform_work_group_size: 1
    .uses_dynamic_stack: false
    .vgpr_count:     107
    .vgpr_spill_count: 0
    .wavefront_size: 32
    .workgroup_processor_mode: 1
amdhsa.target:   amdgcn-amd-amdhsa--gfx1201
amdhsa.version:
  - 1
  - 2
...

	.end_amdgpu_metadata
